;; amdgpu-corpus repo=ROCm/rocFFT kind=compiled arch=gfx1201 opt=O3
	.text
	.amdgcn_target "amdgcn-amd-amdhsa--gfx1201"
	.amdhsa_code_object_version 6
	.protected	fft_rtc_fwd_len128_factors_8_4_4_wgs_128_tpt_16_sp_op_CI_CI_sbrc_aligned_dirReg ; -- Begin function fft_rtc_fwd_len128_factors_8_4_4_wgs_128_tpt_16_sp_op_CI_CI_sbrc_aligned_dirReg
	.globl	fft_rtc_fwd_len128_factors_8_4_4_wgs_128_tpt_16_sp_op_CI_CI_sbrc_aligned_dirReg
	.p2align	8
	.type	fft_rtc_fwd_len128_factors_8_4_4_wgs_128_tpt_16_sp_op_CI_CI_sbrc_aligned_dirReg,@function
fft_rtc_fwd_len128_factors_8_4_4_wgs_128_tpt_16_sp_op_CI_CI_sbrc_aligned_dirReg: ; @fft_rtc_fwd_len128_factors_8_4_4_wgs_128_tpt_16_sp_op_CI_CI_sbrc_aligned_dirReg
; %bb.0:
	s_clause 0x1
	s_load_b256 s[4:11], s[0:1], 0x0
	s_load_b64 s[22:23], s[0:1], 0x20
	s_mov_b32 s27, 0
	s_mov_b64 s[34:35], 2
	s_mov_b32 s21, s27
	s_wait_kmcnt 0x0
	s_load_b32 s2, s[8:9], 0x8
	s_load_b128 s[16:19], s[10:11], 0x0
	s_load_b128 s[12:15], s[22:23], 0x0
	s_wait_kmcnt 0x0
	s_add_co_i32 s2, s2, -1
	s_delay_alu instid0(SALU_CYCLE_1) | instskip(NEXT) | instid1(SALU_CYCLE_1)
	s_lshr_b32 s2, s2, 3
	s_add_co_i32 s33, s2, 1
	s_delay_alu instid0(SALU_CYCLE_1) | instskip(SKIP_1) | instid1(SALU_CYCLE_2)
	s_cvt_f32_u32 s2, s33
	s_sub_co_i32 s3, 0, s33
	v_rcp_iflag_f32_e32 v1, s2
	s_delay_alu instid0(TRANS32_DEP_1) | instskip(NEXT) | instid1(VALU_DEP_1)
	v_readfirstlane_b32 s2, v1
	s_mul_f32 s2, s2, 0x4f7ffffe
	s_wait_alu 0xfffe
	s_delay_alu instid0(SALU_CYCLE_2) | instskip(SKIP_1) | instid1(SALU_CYCLE_2)
	s_cvt_u32_f32 s2, s2
	s_wait_alu 0xfffe
	s_mul_i32 s3, s3, s2
	s_wait_alu 0xfffe
	s_mul_hi_u32 s3, s2, s3
	s_wait_alu 0xfffe
	s_add_co_i32 s2, s2, s3
	s_wait_alu 0xfffe
	s_mul_hi_u32 s3, ttmp9, s2
	s_wait_alu 0xfffe
	s_mul_i32 s2, s3, s33
	s_add_co_i32 s19, s3, 1
	s_wait_alu 0xfffe
	s_sub_co_i32 s15, ttmp9, s2
	s_mov_b32 s2, 3
	s_sub_co_i32 s20, s15, s33
	s_cmp_ge_u32 s15, s33
	s_cselect_b32 s3, s19, s3
	s_cselect_b32 s15, s20, s15
	s_wait_alu 0xfffe
	s_add_co_i32 s19, s3, 1
	s_cmp_ge_u32 s15, s33
	s_cselect_b32 s30, s19, s3
	v_cmp_gt_u64_e64 s3, s[6:7], 2
	s_mul_i32 s15, s30, s33
	s_delay_alu instid0(SALU_CYCLE_1) | instskip(NEXT) | instid1(SALU_CYCLE_1)
	s_sub_co_i32 s15, ttmp9, s15
	s_lshl_b32 s20, s15, 3
	s_delay_alu instid0(VALU_DEP_1)
	s_and_b32 vcc_lo, exec_lo, s3
	s_mul_i32 s26, s20, s18
	s_mul_u64 s[20:21], s[12:13], s[20:21]
	s_cbranch_vccz .LBB0_8
; %bb.1:
	s_mov_b32 s28, ttmp9
	s_mov_b32 s29, s27
	s_mov_b64 s[24:25], s[26:27]
	s_mov_b32 s26, s30
.LBB0_2:                                ; =>This Inner Loop Header: Depth=1
	s_lshl_b64 s[34:35], s[34:35], 3
	s_mov_b32 s36, s27
	s_add_nc_u64 s[30:31], s[8:9], s[34:35]
	s_load_b64 s[30:31], s[30:31], 0x0
	s_wait_kmcnt 0x0
	s_mov_b32 s37, s31
	s_delay_alu instid0(SALU_CYCLE_1)
	s_cmp_lg_u64 s[36:37], 0
	s_cbranch_scc0 .LBB0_7
; %bb.3:                                ;   in Loop: Header=BB0_2 Depth=1
	s_cvt_f32_u32 s3, s30
	s_cvt_f32_u32 s15, s31
	s_sub_nc_u64 s[40:41], 0, s[30:31]
	s_mov_b32 s37, 0
	s_mov_b32 s45, s27
	s_wait_alu 0xfffe
	s_fmamk_f32 s3, s15, 0x4f800000, s3
	s_wait_alu 0xfffe
	s_delay_alu instid0(SALU_CYCLE_2) | instskip(NEXT) | instid1(TRANS32_DEP_1)
	v_s_rcp_f32 s3, s3
	s_mul_f32 s3, s3, 0x5f7ffffc
	s_wait_alu 0xfffe
	s_delay_alu instid0(SALU_CYCLE_2) | instskip(NEXT) | instid1(SALU_CYCLE_3)
	s_mul_f32 s15, s3, 0x2f800000
	s_trunc_f32 s15, s15
	s_delay_alu instid0(SALU_CYCLE_3) | instskip(SKIP_2) | instid1(SALU_CYCLE_1)
	s_fmamk_f32 s3, s15, 0xcf800000, s3
	s_cvt_u32_f32 s39, s15
	s_wait_alu 0xfffe
	s_cvt_u32_f32 s38, s3
	s_wait_alu 0xfffe
	s_delay_alu instid0(SALU_CYCLE_2)
	s_mul_u64 s[42:43], s[40:41], s[38:39]
	s_wait_alu 0xfffe
	s_mul_hi_u32 s47, s38, s43
	s_mul_i32 s46, s38, s43
	s_mul_hi_u32 s36, s38, s42
	s_mul_i32 s15, s39, s42
	s_add_nc_u64 s[46:47], s[36:37], s[46:47]
	s_mul_hi_u32 s3, s39, s42
	s_mul_hi_u32 s19, s39, s43
	s_add_co_u32 s15, s46, s15
	s_wait_alu 0xfffe
	s_add_co_ci_u32 s44, s47, s3
	s_mul_i32 s42, s39, s43
	s_add_co_ci_u32 s43, s19, 0
	s_wait_alu 0xfffe
	s_add_nc_u64 s[42:43], s[44:45], s[42:43]
	s_wait_alu 0xfffe
	v_add_co_u32 v1, s3, s38, s42
	s_delay_alu instid0(VALU_DEP_1) | instskip(SKIP_1) | instid1(VALU_DEP_1)
	s_cmp_lg_u32 s3, 0
	s_add_co_ci_u32 s39, s39, s43
	v_readfirstlane_b32 s38, v1
	s_mov_b32 s43, s27
	s_wait_alu 0xfffe
	s_delay_alu instid0(VALU_DEP_1)
	s_mul_u64 s[40:41], s[40:41], s[38:39]
	s_wait_alu 0xfffe
	s_mul_hi_u32 s45, s38, s41
	s_mul_i32 s44, s38, s41
	s_mul_hi_u32 s36, s38, s40
	s_mul_i32 s15, s39, s40
	s_add_nc_u64 s[44:45], s[36:37], s[44:45]
	s_mul_hi_u32 s3, s39, s40
	s_mul_hi_u32 s19, s39, s41
	s_add_co_u32 s15, s44, s15
	s_wait_alu 0xfffe
	s_add_co_ci_u32 s42, s45, s3
	s_mul_i32 s40, s39, s41
	s_add_co_ci_u32 s41, s19, 0
	s_wait_alu 0xfffe
	s_add_nc_u64 s[40:41], s[42:43], s[40:41]
	s_mov_b32 s42, s27
	s_wait_alu 0xfffe
	v_add_co_u32 v1, s3, v1, s40
	s_delay_alu instid0(VALU_DEP_1) | instskip(SKIP_1) | instid1(VALU_DEP_1)
	s_cmp_lg_u32 s3, 0
	s_add_co_ci_u32 s15, s39, s41
	v_readfirstlane_b32 s3, v1
	s_mul_hi_u32 s41, s26, s15
	s_mul_i32 s40, s26, s15
	s_mov_b32 s39, s27
	s_delay_alu instid0(VALU_DEP_1)
	s_mul_hi_u32 s36, s26, s3
	s_wait_alu 0xfffe
	s_add_nc_u64 s[40:41], s[36:37], s[40:41]
	s_wait_alu 0xfffe
	s_mov_b32 s38, s41
	s_wait_alu 0xfffe
	s_or_b64 s[38:39], s[38:39], s[42:43]
	s_mov_b32 s38, s41
	s_wait_alu 0xfffe
	s_mul_u64 s[42:43], s[30:31], s[38:39]
	s_add_nc_u64 s[44:45], s[38:39], 1
	s_wait_alu 0xfffe
	v_sub_co_u32 v1, s3, s26, s42
	s_sub_co_i32 s15, 0, s43
	s_cmp_lg_u32 s3, 0
	s_add_nc_u64 s[46:47], s[38:39], 2
	s_delay_alu instid0(VALU_DEP_1) | instskip(SKIP_2) | instid1(VALU_DEP_1)
	v_sub_co_u32 v2, s19, v1, s30
	s_sub_co_ci_u32 s15, s15, s31
	s_cmp_lg_u32 s19, 0
	v_readfirstlane_b32 s19, v2
	s_sub_co_ci_u32 s15, s15, 0
	s_delay_alu instid0(SALU_CYCLE_1) | instskip(SKIP_1) | instid1(VALU_DEP_1)
	s_cmp_ge_u32 s15, s31
	s_cselect_b32 s36, -1, 0
	s_cmp_ge_u32 s19, s30
	s_cselect_b32 s19, -1, 0
	s_cmp_eq_u32 s15, s31
	s_cselect_b32 s15, s19, s36
	s_delay_alu instid0(SALU_CYCLE_1)
	s_cmp_lg_u32 s15, 0
	s_cselect_b32 s15, s46, s44
	s_cselect_b32 s19, s47, s45
	s_cmp_lg_u32 s3, 0
	v_readfirstlane_b32 s3, v1
	s_sub_co_ci_u32 s36, 0, s43
	s_delay_alu instid0(SALU_CYCLE_1) | instskip(SKIP_1) | instid1(VALU_DEP_1)
	s_cmp_ge_u32 s36, s31
	s_cselect_b32 s38, -1, 0
	s_cmp_ge_u32 s3, s30
	s_cselect_b32 s3, -1, 0
	s_cmp_eq_u32 s36, s31
	s_wait_alu 0xfffe
	s_cselect_b32 s3, s3, s38
	s_wait_alu 0xfffe
	s_cmp_lg_u32 s3, 0
	s_cselect_b32 s39, s19, s39
	s_cselect_b32 s38, s15, s41
	s_cbranch_execnz .LBB0_5
.LBB0_4:                                ;   in Loop: Header=BB0_2 Depth=1
	v_cvt_f32_u32_e32 v1, s30
	s_sub_co_i32 s15, 0, s30
	s_mov_b32 s39, s27
	s_delay_alu instid0(VALU_DEP_1) | instskip(NEXT) | instid1(TRANS32_DEP_1)
	v_rcp_iflag_f32_e32 v1, v1
	v_mul_f32_e32 v1, 0x4f7ffffe, v1
	s_delay_alu instid0(VALU_DEP_1) | instskip(NEXT) | instid1(VALU_DEP_1)
	v_cvt_u32_f32_e32 v1, v1
	v_readfirstlane_b32 s3, v1
	s_delay_alu instid0(VALU_DEP_1) | instskip(NEXT) | instid1(SALU_CYCLE_1)
	s_mul_i32 s15, s15, s3
	s_mul_hi_u32 s15, s3, s15
	s_delay_alu instid0(SALU_CYCLE_1)
	s_add_co_i32 s3, s3, s15
	s_wait_alu 0xfffe
	s_mul_hi_u32 s3, s26, s3
	s_wait_alu 0xfffe
	s_mul_i32 s15, s3, s30
	s_add_co_i32 s19, s3, 1
	s_sub_co_i32 s15, s26, s15
	s_delay_alu instid0(SALU_CYCLE_1)
	s_sub_co_i32 s36, s15, s30
	s_cmp_ge_u32 s15, s30
	s_cselect_b32 s3, s19, s3
	s_cselect_b32 s15, s36, s15
	s_wait_alu 0xfffe
	s_add_co_i32 s19, s3, 1
	s_cmp_ge_u32 s15, s30
	s_cselect_b32 s38, s19, s3
.LBB0_5:                                ;   in Loop: Header=BB0_2 Depth=1
	s_add_nc_u64 s[36:37], s[10:11], s[34:35]
	s_add_nc_u64 s[34:35], s[22:23], s[34:35]
	s_load_b64 s[36:37], s[36:37], 0x0
	s_load_b64 s[40:41], s[34:35], 0x0
	s_mov_b32 s3, s27
	s_mul_u64 s[34:35], s[38:39], s[30:31]
	s_wait_alu 0xfffe
	v_cmp_ge_u64_e64 s15, s[2:3], s[6:7]
	s_mul_i32 s33, s33, s30
	s_sub_nc_u64 s[30:31], s[26:27], s[34:35]
	s_mov_b64 s[34:35], s[2:3]
	s_add_co_i32 s2, s2, 1
	s_delay_alu instid0(VALU_DEP_1)
	s_and_b32 vcc_lo, exec_lo, s15
	s_wait_kmcnt 0x0
	s_wait_alu 0xfffe
	s_mul_u64 s[36:37], s[36:37], s[30:31]
	s_mul_u64 s[30:31], s[40:41], s[30:31]
	s_add_nc_u64 s[24:25], s[36:37], s[24:25]
	s_wait_alu 0xfffe
	s_add_nc_u64 s[20:21], s[30:31], s[20:21]
	s_cbranch_vccnz .LBB0_9
; %bb.6:                                ;   in Loop: Header=BB0_2 Depth=1
	s_mov_b32 s26, s38
	s_branch .LBB0_2
.LBB0_7:                                ;   in Loop: Header=BB0_2 Depth=1
                                        ; implicit-def: $sgpr38_sgpr39
	s_branch .LBB0_4
.LBB0_8:
	s_mov_b64 s[24:25], s[26:27]
	s_branch .LBB0_10
.LBB0_9:
	s_cvt_f32_u32 s2, s33
	s_sub_co_i32 s3, 0, s33
	s_wait_alu 0xfffe
	s_delay_alu instid0(SALU_CYCLE_1) | instskip(NEXT) | instid1(TRANS32_DEP_1)
	v_rcp_iflag_f32_e32 v1, s2
	v_readfirstlane_b32 s2, v1
	s_delay_alu instid0(VALU_DEP_1) | instskip(SKIP_1) | instid1(SALU_CYCLE_2)
	s_mul_f32 s2, s2, 0x4f7ffffe
	s_wait_alu 0xfffe
	s_cvt_u32_f32 s2, s2
	s_wait_alu 0xfffe
	s_delay_alu instid0(SALU_CYCLE_2)
	s_mul_i32 s3, s3, s2
	s_wait_alu 0xfffe
	s_mul_hi_u32 s8, s2, s3
	s_mov_b32 s3, 0
	s_add_co_i32 s2, s2, s8
	s_wait_alu 0xfffe
	s_mul_u64 s[2:3], s[28:29], s[2:3]
	s_wait_alu 0xfffe
	s_mul_i32 s2, s3, s33
	s_add_co_i32 s8, s3, 1
	s_wait_alu 0xfffe
	s_sub_co_i32 s2, ttmp9, s2
	s_wait_alu 0xfffe
	s_sub_co_i32 s9, s2, s33
	s_cmp_ge_u32 s2, s33
	s_cselect_b32 s3, s8, s3
	s_cselect_b32 s2, s9, s2
	s_wait_alu 0xfffe
	s_add_co_i32 s8, s3, 1
	s_cmp_ge_u32 s2, s33
	s_cselect_b32 s30, s8, s3
.LBB0_10:
	s_lshl_b64 s[6:7], s[6:7], 3
	s_load_b128 s[0:3], s[0:1], 0x58
	s_add_nc_u64 s[8:9], s[10:11], s[6:7]
	s_add_nc_u64 s[6:7], s[22:23], s[6:7]
	s_load_b64 s[8:9], s[8:9], 0x0
	s_load_b64 s[6:7], s[6:7], 0x0
	v_mad_co_u64_u32 v[1:2], null, s16, v0, 0
	s_mov_b32 s31, 0
	s_lshl_b64 s[10:11], s[24:25], 3
	s_wait_alu 0xfffe
	s_mov_b32 s19, s31
	v_lshrrev_b32_e32 v26, 3, v0
	v_and_b32_e32 v28, 7, v0
	v_bfe_u32 v20, v0, 3, 3
	v_mad_co_u64_u32 v[2:3], null, s17, v0, v[2:3]
	s_lshl_b64 s[16:17], s[18:19], 3
	s_delay_alu instid0(VALU_DEP_3) | instskip(SKIP_1) | instid1(VALU_DEP_3)
	v_lshlrev_b32_e32 v24, 3, v28
	v_or_b32_e32 v29, 16, v26
	v_lshlrev_b64_e32 v[1:2], 3, v[1:2]
	s_delay_alu instid0(VALU_DEP_2)
	v_mul_u32_u24_e32 v30, 3, v29
	s_wait_kmcnt 0x0
	s_mul_u64 s[8:9], s[8:9], s[30:31]
	s_mul_u64 s[6:7], s[6:7], s[30:31]
	s_lshl_b64 s[8:9], s[8:9], 3
	s_add_co_i32 s30, s18, s18
	s_add_nc_u64 s[0:1], s[0:1], s[8:9]
	s_wait_alu 0xfffe
	s_lshl_b64 s[22:23], s[30:31], 3
	s_add_nc_u64 s[0:1], s[0:1], s[10:11]
	s_add_co_i32 s30, s30, s18
	v_add_co_u32 v1, vcc_lo, s0, v1
	v_add_co_ci_u32_e32 v2, vcc_lo, s1, v2, vcc_lo
	s_wait_alu 0xfffe
	s_lshl_b64 s[8:9], s[30:31], 3
	s_delay_alu instid0(VALU_DEP_2)
	v_add_co_u32 v3, vcc_lo, v1, s16
	s_wait_alu 0xfffd
	v_add_co_ci_u32_e32 v4, vcc_lo, s17, v2, vcc_lo
	v_add_co_u32 v5, vcc_lo, v1, s22
	s_add_co_i32 s30, s30, s18
	s_wait_alu 0xfffd
	v_add_co_ci_u32_e32 v6, vcc_lo, s23, v2, vcc_lo
	v_add_co_u32 v7, vcc_lo, v1, s8
	s_wait_alu 0xfffe
	s_lshl_b64 s[0:1], s[30:31], 3
	s_wait_alu 0xfffd
	v_add_co_ci_u32_e32 v8, vcc_lo, s9, v2, vcc_lo
	s_add_co_i32 s30, s30, s18
	s_wait_alu 0xfffe
	v_add_co_u32 v9, vcc_lo, v1, s0
	s_wait_alu 0xfffd
	v_add_co_ci_u32_e32 v10, vcc_lo, s1, v2, vcc_lo
	s_lshl_b64 s[0:1], s[30:31], 3
	s_add_co_i32 s30, s30, s18
	s_wait_alu 0xfffe
	v_add_co_u32 v11, vcc_lo, v1, s0
	s_wait_alu 0xfffd
	v_add_co_ci_u32_e32 v12, vcc_lo, s1, v2, vcc_lo
	s_lshl_b64 s[0:1], s[30:31], 3
	;; [unrolled: 6-line block ×3, first 2 shown]
	s_wait_alu 0xfffe
	v_add_co_u32 v15, vcc_lo, v1, s0
	s_wait_alu 0xfffd
	v_add_co_ci_u32_e32 v16, vcc_lo, s1, v2, vcc_lo
	s_clause 0x7
	global_load_b64 v[17:18], v[1:2], off
	global_load_b64 v[2:3], v[3:4], off
	;; [unrolled: 1-line block ×8, first 2 shown]
	v_lshlrev_b32_e32 v1, 6, v26
	v_lshl_add_u32 v16, v0, 6, 0
	v_lshrrev_b32_e32 v0, 1, v0
	s_lshl_b64 s[0:1], s[20:21], 3
	s_wait_loadcnt 0x6
	ds_store_2addr_b64 v16, v[17:18], v[2:3] offset1:1
	s_wait_loadcnt 0x4
	ds_store_2addr_b64 v16, v[4:5], v[6:7] offset0:2 offset1:3
	s_wait_loadcnt 0x2
	ds_store_2addr_b64 v16, v[8:9], v[10:11] offset0:4 offset1:5
	;; [unrolled: 2-line block ×3, first 2 shown]
	v_add3_u32 v1, 0, v1, v24
	global_wb scope:SCOPE_SE
	s_wait_dscnt 0x0
	s_barrier_signal -1
	s_barrier_wait -1
	global_inv scope:SCOPE_SE
	ds_load_2addr_stride64_b64 v[2:5], v1 offset1:2
	ds_load_2addr_stride64_b64 v[6:9], v1 offset0:8 offset1:10
	ds_load_2addr_stride64_b64 v[10:13], v1 offset0:4 offset1:6
	;; [unrolled: 1-line block ×3, first 2 shown]
	v_mul_u32_u24_e32 v18, 3, v20
	v_mad_u32_u24 v19, 0x1c0, v26, v1
	global_wb scope:SCOPE_SE
	s_wait_dscnt 0x0
	s_barrier_signal -1
	s_barrier_wait -1
	v_lshlrev_b32_e32 v18, 3, v18
	global_inv scope:SCOPE_SE
	v_and_or_b32 v0, v0, 32, v20
	s_wait_alu 0xfffe
	s_add_nc_u64 s[0:1], s[2:3], s[0:1]
	s_lshl_b64 s[2:3], s[6:7], 3
	v_add_nc_u32_e32 v43, 0x1c00, v1
	s_wait_alu 0xfffe
	s_add_nc_u64 s[0:1], s[2:3], s[0:1]
	v_dual_sub_f32 v6, v2, v6 :: v_dual_sub_f32 v7, v3, v7
	v_sub_f32_e32 v17, v13, v17
	v_dual_sub_f32 v15, v11, v15 :: v_dual_sub_f32 v8, v4, v8
	v_dual_sub_f32 v9, v5, v9 :: v_dual_sub_f32 v16, v12, v16
	v_sub_f32_e32 v14, v10, v14
	v_fma_f32 v21, v2, 2.0, -v6
	v_fma_f32 v22, v3, 2.0, -v7
	;; [unrolled: 1-line block ×8, first 2 shown]
	v_dual_sub_f32 v12, v6, v15 :: v_dual_add_f32 v15, v9, v16
	v_dual_add_f32 v13, v7, v14 :: v_dual_sub_f32 v14, v8, v17
	v_dual_sub_f32 v17, v22, v3 :: v_dual_sub_f32 v16, v21, v2
	s_delay_alu instid0(VALU_DEP_2)
	v_fmamk_f32 v3, v15, 0x3f3504f3, v13
	v_fma_f32 v25, v7, 2.0, -v13
	v_sub_f32_e32 v7, v4, v10
	v_fma_f32 v23, v6, 2.0, -v12
	v_sub_f32_e32 v6, v5, v11
	v_fma_f32 v11, v9, 2.0, -v15
	v_fma_f32 v10, v8, 2.0, -v14
	;; [unrolled: 1-line block ×5, first 2 shown]
	v_fmamk_f32 v5, v11, 0xbf3504f3, v25
	v_dual_fmamk_f32 v2, v14, 0x3f3504f3, v12 :: v_dual_add_f32 v7, v17, v7
	v_fmamk_f32 v4, v10, 0xbf3504f3, v23
	v_dual_fmac_f32 v3, 0x3f3504f3, v14 :: v_dual_sub_f32 v8, v21, v8
	s_delay_alu instid0(VALU_DEP_4) | instskip(SKIP_2) | instid1(VALU_DEP_4)
	v_fmac_f32_e32 v5, 0x3f3504f3, v10
	v_fma_f32 v22, v22, 2.0, -v17
	v_sub_f32_e32 v6, v16, v6
	v_fma_f32 v13, v13, 2.0, -v3
	v_fma_f32 v14, v21, 2.0, -v8
	v_lshlrev_b32_e32 v21, 2, v29
	v_dual_sub_f32 v9, v22, v9 :: v_dual_fmac_f32 v4, 0xbf3504f3, v11
	v_fma_f32 v11, v17, 2.0, -v7
	v_fma_f32 v17, v25, 2.0, -v5
	v_mul_u32_u24_e32 v25, 3, v26
	v_fmac_f32_e32 v2, 0xbf3504f3, v15
	v_fma_f32 v10, v16, 2.0, -v6
	v_fma_f32 v15, v22, 2.0, -v9
	;; [unrolled: 1-line block ×3, first 2 shown]
	v_lshlrev_b32_e32 v25, 3, v25
	v_fma_f32 v12, v12, 2.0, -v2
	v_lshlrev_b32_e32 v22, 6, v29
	ds_store_2addr_b64 v19, v[6:7], v[2:3] offset0:48 offset1:56
	ds_store_2addr_b64 v19, v[10:11], v[12:13] offset0:16 offset1:24
	;; [unrolled: 1-line block ×3, first 2 shown]
	ds_store_2addr_b64 v19, v[14:15], v[16:17] offset1:8
	global_wb scope:SCOPE_SE
	s_wait_dscnt 0x0
	s_barrier_signal -1
	s_barrier_wait -1
	global_inv scope:SCOPE_SE
	s_clause 0x1
	global_load_b128 v[2:5], v18, s[4:5]
	global_load_b64 v[18:19], v18, s[4:5] offset:16
	ds_load_2addr_stride64_b64 v[6:9], v1 offset1:4
	ds_load_2addr_stride64_b64 v[10:13], v1 offset0:6 offset1:8
	ds_load_2addr_stride64_b64 v[14:17], v1 offset0:10 offset1:12
	v_and_or_b32 v23, 0x60, v21, v20
	ds_load_b64 v[20:21], v1 offset:7168
	v_add3_u32 v42, 0, v22, v24
	v_lshlrev_b32_e32 v0, 6, v0
	v_mul_lo_u32 v26, v26, s14
	v_lshlrev_b32_e32 v27, 6, v23
	ds_load_b64 v[22:23], v42
	global_wb scope:SCOPE_SE
	s_wait_loadcnt_dscnt 0x0
	s_barrier_signal -1
	s_barrier_wait -1
	global_inv scope:SCOPE_SE
	v_dual_mul_f32 v32, v5, v13 :: v_dual_mul_f32 v31, v3, v8
	v_dual_mul_f32 v33, v5, v12 :: v_dual_mul_f32 v34, v19, v17
	v_mul_f32_e32 v37, v3, v10
	v_add3_u32 v0, 0, v0, v24
	v_add3_u32 v24, 0, v27, v24
	v_mul_f32_e32 v27, v3, v9
	v_mul_f32_e32 v36, v3, v11
	v_dual_mul_f32 v3, v5, v15 :: v_dual_mul_f32 v38, v19, v21
	v_mul_f32_e32 v5, v5, v14
	s_delay_alu instid0(VALU_DEP_4)
	v_fma_f32 v8, v2, v8, -v27
	v_fmac_f32_e32 v31, v2, v9
	v_fma_f32 v9, v4, v12, -v32
	v_fma_f32 v12, v18, v16, -v34
	;; [unrolled: 1-line block ×3, first 2 shown]
	v_fmac_f32_e32 v5, v4, v15
	v_fmac_f32_e32 v37, v2, v11
	v_fma_f32 v2, v4, v14, -v3
	v_fma_f32 v3, v18, v20, -v38
	v_fmac_f32_e32 v33, v4, v13
	v_dual_sub_f32 v9, v6, v9 :: v_dual_sub_f32 v4, v8, v12
	s_delay_alu instid0(VALU_DEP_3) | instskip(SKIP_1) | instid1(VALU_DEP_3)
	v_dual_sub_f32 v14, v23, v5 :: v_dual_sub_f32 v5, v10, v3
	v_mul_f32_e32 v35, v19, v16
	v_fma_f32 v16, v6, 2.0, -v9
	s_delay_alu instid0(VALU_DEP_4) | instskip(SKIP_3) | instid1(VALU_DEP_4)
	v_fma_f32 v6, v8, 2.0, -v4
	v_sub_f32_e32 v13, v22, v2
	v_fma_f32 v10, v10, 2.0, -v5
	v_mul_f32_e32 v19, v19, v20
	v_dual_add_f32 v5, v14, v5 :: v_dual_sub_f32 v6, v16, v6
	v_fmac_f32_e32 v35, v18, v17
	v_mov_b32_e32 v27, 0
	s_delay_alu instid0(VALU_DEP_4) | instskip(SKIP_1) | instid1(VALU_DEP_4)
	v_fmac_f32_e32 v19, v18, v21
	v_fma_f32 v18, v22, 2.0, -v13
	v_sub_f32_e32 v12, v31, v35
	v_sub_f32_e32 v11, v7, v33
	s_delay_alu instid0(VALU_DEP_4)
	v_sub_f32_e32 v15, v37, v19
	v_fma_f32 v19, v23, 2.0, -v14
	v_sub_f32_e32 v10, v18, v10
	v_sub_f32_e32 v2, v9, v12
	v_fma_f32 v17, v7, 2.0, -v11
	v_fma_f32 v7, v31, 2.0, -v12
	v_add_f32_e32 v3, v11, v4
	v_fma_f32 v12, v37, 2.0, -v15
	v_sub_f32_e32 v4, v13, v15
	v_fma_f32 v8, v9, 2.0, -v2
	v_sub_f32_e32 v7, v17, v7
	;; [unrolled: 2-line block ×3, first 2 shown]
	v_fma_f32 v12, v13, 2.0, -v4
	v_fma_f32 v13, v14, 2.0, -v5
	;; [unrolled: 1-line block ×6, first 2 shown]
	ds_store_2addr_stride64_b64 v0, v[14:15], v[8:9] offset1:1
	ds_store_2addr_stride64_b64 v0, v[6:7], v[2:3] offset0:2 offset1:3
	ds_store_2addr_stride64_b64 v24, v[16:17], v[12:13] offset1:1
	ds_store_2addr_stride64_b64 v24, v[10:11], v[4:5] offset0:2 offset1:3
	v_lshlrev_b32_e32 v0, 3, v30
	global_wb scope:SCOPE_SE
	s_wait_dscnt 0x0
	s_barrier_signal -1
	s_barrier_wait -1
	global_inv scope:SCOPE_SE
	s_clause 0x3
	global_load_b128 v[2:5], v25, s[4:5] offset:192
	global_load_b64 v[22:23], v25, s[4:5] offset:208
	global_load_b128 v[6:9], v0, s[4:5] offset:192
	global_load_b64 v[24:25], v0, s[4:5] offset:208
	v_mad_co_u64_u32 v[10:11], null, s12, v28, 0
	s_lshl_b32 s4, s14, 5
	v_lshlrev_b64_e32 v[12:13], 3, v[26:27]
	v_add_nc_u32_e32 v26, s4, v26
	s_delay_alu instid0(VALU_DEP_3) | instskip(NEXT) | instid1(VALU_DEP_2)
	v_mov_b32_e32 v0, v11
	v_lshlrev_b64_e32 v[14:15], 3, v[26:27]
	v_add_nc_u32_e32 v26, s4, v26
	s_delay_alu instid0(VALU_DEP_3) | instskip(NEXT) | instid1(VALU_DEP_2)
	v_mad_co_u64_u32 v[16:17], null, s13, v28, v[0:1]
	v_lshlrev_b64_e32 v[17:18], 3, v[26:27]
	s_delay_alu instid0(VALU_DEP_2) | instskip(NEXT) | instid1(VALU_DEP_1)
	v_dual_mov_b32 v11, v16 :: v_dual_add_nc_u32 v26, s4, v26
	v_lshlrev_b64_e32 v[19:20], 3, v[26:27]
	v_mul_lo_u32 v26, v29, s14
	s_delay_alu instid0(VALU_DEP_3) | instskip(NEXT) | instid1(VALU_DEP_2)
	v_lshlrev_b64_e32 v[10:11], 3, v[10:11]
	v_lshlrev_b64_e32 v[28:29], 3, v[26:27]
	s_wait_alu 0xfffe
	s_delay_alu instid0(VALU_DEP_2) | instskip(SKIP_1) | instid1(VALU_DEP_3)
	v_add_co_u32 v44, vcc_lo, s0, v10
	s_wait_alu 0xfffd
	v_add_co_ci_u32_e32 v45, vcc_lo, s1, v11, vcc_lo
	v_add_nc_u32_e32 v26, s4, v26
	s_delay_alu instid0(VALU_DEP_3) | instskip(SKIP_1) | instid1(VALU_DEP_3)
	v_add_co_u32 v32, vcc_lo, v44, v12
	s_wait_alu 0xfffd
	v_add_co_ci_u32_e32 v33, vcc_lo, v45, v13, vcc_lo
	v_add_co_u32 v34, vcc_lo, v44, v14
	s_wait_alu 0xfffd
	v_add_co_ci_u32_e32 v35, vcc_lo, v45, v15, vcc_lo
	v_add_co_u32 v36, vcc_lo, v44, v17
	ds_load_2addr_stride64_b64 v[14:17], v1 offset0:6 offset1:8
	s_wait_alu 0xfffd
	v_add_co_ci_u32_e32 v37, vcc_lo, v45, v18, vcc_lo
	v_add_co_u32 v38, vcc_lo, v44, v19
	s_wait_alu 0xfffd
	v_add_co_ci_u32_e32 v39, vcc_lo, v45, v20, vcc_lo
	ds_load_2addr_stride64_b64 v[10:13], v1 offset1:4
	ds_load_2addr_stride64_b64 v[18:21], v1 offset0:10 offset1:12
	v_lshlrev_b64_e32 v[30:31], 3, v[26:27]
	v_add_nc_u32_e32 v26, s4, v26
	v_add_co_u32 v28, vcc_lo, v44, v28
	s_wait_alu 0xfffd
	v_add_co_ci_u32_e32 v29, vcc_lo, v45, v29, vcc_lo
	s_delay_alu instid0(VALU_DEP_3) | instskip(SKIP_4) | instid1(VALU_DEP_3)
	v_lshlrev_b64_e32 v[40:41], 3, v[26:27]
	v_add_nc_u32_e32 v26, s4, v26
	v_add_co_u32 v0, vcc_lo, v44, v30
	s_wait_alu 0xfffd
	v_add_co_ci_u32_e32 v1, vcc_lo, v45, v31, vcc_lo
	v_lshlrev_b64_e32 v[26:27], 3, v[26:27]
	v_add_co_u32 v40, vcc_lo, v44, v40
	s_wait_alu 0xfffd
	v_add_co_ci_u32_e32 v41, vcc_lo, v45, v41, vcc_lo
	s_delay_alu instid0(VALU_DEP_3)
	v_add_co_u32 v26, vcc_lo, v44, v26
	s_wait_alu 0xfffd
	v_add_co_ci_u32_e32 v27, vcc_lo, v45, v27, vcc_lo
	s_wait_loadcnt_dscnt 0x200
	v_mul_f32_e32 v46, v23, v21
	s_wait_loadcnt 0x1
	v_mul_f32_e32 v47, v7, v15
	v_mul_f32_e32 v7, v7, v14
	;; [unrolled: 1-line block ×6, first 2 shown]
	v_fmac_f32_e32 v7, v6, v15
	v_mul_f32_e32 v5, v5, v16
	v_fma_f32 v12, v2, v12, -v44
	v_fmac_f32_e32 v3, v2, v13
	v_fma_f32 v2, v4, v16, -v45
	v_fma_f32 v13, v6, v14, -v47
	v_fmac_f32_e32 v5, v4, v17
	v_fma_f32 v4, v22, v20, -v46
	v_fma_f32 v6, v8, v18, -v48
	v_mul_f32_e32 v9, v9, v18
	s_delay_alu instid0(VALU_DEP_4) | instskip(NEXT) | instid1(VALU_DEP_4)
	v_dual_sub_f32 v14, v10, v2 :: v_dual_sub_f32 v15, v11, v5
	v_sub_f32_e32 v4, v12, v4
	ds_load_2addr_b32 v[30:31], v43 offset1:1
	ds_load_b64 v[42:43], v42
	v_fmac_f32_e32 v9, v8, v19
	v_fma_f32 v18, v10, 2.0, -v14
	v_fma_f32 v19, v11, 2.0, -v15
	s_wait_loadcnt_dscnt 0x1
	v_mul_f32_e32 v49, v31, v25
	v_mul_f32_e32 v25, v25, v30
	s_wait_dscnt 0x0
	v_dual_sub_f32 v16, v42, v6 :: v_dual_sub_f32 v17, v43, v9
	s_delay_alu instid0(VALU_DEP_3) | instskip(NEXT) | instid1(VALU_DEP_3)
	v_fma_f32 v8, v24, v30, -v49
	v_fmac_f32_e32 v25, v31, v24
	s_delay_alu instid0(VALU_DEP_1) | instskip(SKIP_3) | instid1(VALU_DEP_4)
	v_dual_sub_f32 v5, v13, v8 :: v_dual_sub_f32 v6, v7, v25
	v_mul_f32_e32 v23, v23, v20
	v_fma_f32 v8, v12, 2.0, -v4
	v_fma_f32 v20, v42, 2.0, -v16
	;; [unrolled: 1-line block ×4, first 2 shown]
	v_fmac_f32_e32 v23, v22, v21
	v_fma_f32 v21, v43, 2.0, -v17
	s_delay_alu instid0(VALU_DEP_4) | instskip(NEXT) | instid1(VALU_DEP_3)
	v_dual_add_f32 v5, v17, v5 :: v_dual_sub_f32 v10, v20, v10
	v_sub_f32_e32 v2, v3, v23
	s_delay_alu instid0(VALU_DEP_3) | instskip(NEXT) | instid1(VALU_DEP_2)
	v_sub_f32_e32 v11, v21, v11
	v_fma_f32 v9, v3, 2.0, -v2
	v_dual_add_f32 v3, v15, v4 :: v_dual_sub_f32 v4, v16, v6
	v_sub_f32_e32 v6, v18, v8
	s_delay_alu instid0(VALU_DEP_3) | instskip(NEXT) | instid1(VALU_DEP_3)
	v_dual_sub_f32 v2, v14, v2 :: v_dual_sub_f32 v7, v19, v9
	v_fma_f32 v9, v15, 2.0, -v3
	v_fma_f32 v15, v17, 2.0, -v5
	s_delay_alu instid0(VALU_DEP_4) | instskip(NEXT) | instid1(VALU_DEP_4)
	v_fma_f32 v12, v18, 2.0, -v6
	v_fma_f32 v8, v14, 2.0, -v2
	;; [unrolled: 1-line block ×6, first 2 shown]
	s_clause 0x7
	global_store_b64 v[32:33], v[12:13], off
	global_store_b64 v[34:35], v[8:9], off
	;; [unrolled: 1-line block ×8, first 2 shown]
	s_nop 0
	s_sendmsg sendmsg(MSG_DEALLOC_VGPRS)
	s_endpgm
	.section	.rodata,"a",@progbits
	.p2align	6, 0x0
	.amdhsa_kernel fft_rtc_fwd_len128_factors_8_4_4_wgs_128_tpt_16_sp_op_CI_CI_sbrc_aligned_dirReg
		.amdhsa_group_segment_fixed_size 0
		.amdhsa_private_segment_fixed_size 0
		.amdhsa_kernarg_size 104
		.amdhsa_user_sgpr_count 2
		.amdhsa_user_sgpr_dispatch_ptr 0
		.amdhsa_user_sgpr_queue_ptr 0
		.amdhsa_user_sgpr_kernarg_segment_ptr 1
		.amdhsa_user_sgpr_dispatch_id 0
		.amdhsa_user_sgpr_private_segment_size 0
		.amdhsa_wavefront_size32 1
		.amdhsa_uses_dynamic_stack 0
		.amdhsa_enable_private_segment 0
		.amdhsa_system_sgpr_workgroup_id_x 1
		.amdhsa_system_sgpr_workgroup_id_y 0
		.amdhsa_system_sgpr_workgroup_id_z 0
		.amdhsa_system_sgpr_workgroup_info 0
		.amdhsa_system_vgpr_workitem_id 0
		.amdhsa_next_free_vgpr 50
		.amdhsa_next_free_sgpr 48
		.amdhsa_reserve_vcc 1
		.amdhsa_float_round_mode_32 0
		.amdhsa_float_round_mode_16_64 0
		.amdhsa_float_denorm_mode_32 3
		.amdhsa_float_denorm_mode_16_64 3
		.amdhsa_fp16_overflow 0
		.amdhsa_workgroup_processor_mode 1
		.amdhsa_memory_ordered 1
		.amdhsa_forward_progress 0
		.amdhsa_round_robin_scheduling 0
		.amdhsa_exception_fp_ieee_invalid_op 0
		.amdhsa_exception_fp_denorm_src 0
		.amdhsa_exception_fp_ieee_div_zero 0
		.amdhsa_exception_fp_ieee_overflow 0
		.amdhsa_exception_fp_ieee_underflow 0
		.amdhsa_exception_fp_ieee_inexact 0
		.amdhsa_exception_int_div_zero 0
	.end_amdhsa_kernel
	.text
.Lfunc_end0:
	.size	fft_rtc_fwd_len128_factors_8_4_4_wgs_128_tpt_16_sp_op_CI_CI_sbrc_aligned_dirReg, .Lfunc_end0-fft_rtc_fwd_len128_factors_8_4_4_wgs_128_tpt_16_sp_op_CI_CI_sbrc_aligned_dirReg
                                        ; -- End function
	.section	.AMDGPU.csdata,"",@progbits
; Kernel info:
; codeLenInByte = 3720
; NumSgprs: 50
; NumVgprs: 50
; ScratchSize: 0
; MemoryBound: 0
; FloatMode: 240
; IeeeMode: 1
; LDSByteSize: 0 bytes/workgroup (compile time only)
; SGPRBlocks: 6
; VGPRBlocks: 6
; NumSGPRsForWavesPerEU: 50
; NumVGPRsForWavesPerEU: 50
; Occupancy: 16
; WaveLimiterHint : 1
; COMPUTE_PGM_RSRC2:SCRATCH_EN: 0
; COMPUTE_PGM_RSRC2:USER_SGPR: 2
; COMPUTE_PGM_RSRC2:TRAP_HANDLER: 0
; COMPUTE_PGM_RSRC2:TGID_X_EN: 1
; COMPUTE_PGM_RSRC2:TGID_Y_EN: 0
; COMPUTE_PGM_RSRC2:TGID_Z_EN: 0
; COMPUTE_PGM_RSRC2:TIDIG_COMP_CNT: 0
	.text
	.p2alignl 7, 3214868480
	.fill 96, 4, 3214868480
	.type	__hip_cuid_74ecb1f9d0305742,@object ; @__hip_cuid_74ecb1f9d0305742
	.section	.bss,"aw",@nobits
	.globl	__hip_cuid_74ecb1f9d0305742
__hip_cuid_74ecb1f9d0305742:
	.byte	0                               ; 0x0
	.size	__hip_cuid_74ecb1f9d0305742, 1

	.ident	"AMD clang version 19.0.0git (https://github.com/RadeonOpenCompute/llvm-project roc-6.4.0 25133 c7fe45cf4b819c5991fe208aaa96edf142730f1d)"
	.section	".note.GNU-stack","",@progbits
	.addrsig
	.addrsig_sym __hip_cuid_74ecb1f9d0305742
	.amdgpu_metadata
---
amdhsa.kernels:
  - .args:
      - .actual_access:  read_only
        .address_space:  global
        .offset:         0
        .size:           8
        .value_kind:     global_buffer
      - .offset:         8
        .size:           8
        .value_kind:     by_value
      - .actual_access:  read_only
        .address_space:  global
        .offset:         16
        .size:           8
        .value_kind:     global_buffer
      - .actual_access:  read_only
        .address_space:  global
        .offset:         24
        .size:           8
        .value_kind:     global_buffer
      - .actual_access:  read_only
        .address_space:  global
        .offset:         32
        .size:           8
        .value_kind:     global_buffer
      - .offset:         40
        .size:           8
        .value_kind:     by_value
      - .actual_access:  read_only
        .address_space:  global
        .offset:         48
        .size:           8
        .value_kind:     global_buffer
      - .actual_access:  read_only
        .address_space:  global
        .offset:         56
        .size:           8
        .value_kind:     global_buffer
      - .offset:         64
        .size:           4
        .value_kind:     by_value
      - .actual_access:  read_only
        .address_space:  global
        .offset:         72
        .size:           8
        .value_kind:     global_buffer
      - .actual_access:  read_only
        .address_space:  global
        .offset:         80
        .size:           8
        .value_kind:     global_buffer
      - .actual_access:  read_only
        .address_space:  global
        .offset:         88
        .size:           8
        .value_kind:     global_buffer
      - .actual_access:  write_only
        .address_space:  global
        .offset:         96
        .size:           8
        .value_kind:     global_buffer
    .group_segment_fixed_size: 0
    .kernarg_segment_align: 8
    .kernarg_segment_size: 104
    .language:       OpenCL C
    .language_version:
      - 2
      - 0
    .max_flat_workgroup_size: 128
    .name:           fft_rtc_fwd_len128_factors_8_4_4_wgs_128_tpt_16_sp_op_CI_CI_sbrc_aligned_dirReg
    .private_segment_fixed_size: 0
    .sgpr_count:     50
    .sgpr_spill_count: 0
    .symbol:         fft_rtc_fwd_len128_factors_8_4_4_wgs_128_tpt_16_sp_op_CI_CI_sbrc_aligned_dirReg.kd
    .uniform_work_group_size: 1
    .uses_dynamic_stack: false
    .vgpr_count:     50
    .vgpr_spill_count: 0
    .wavefront_size: 32
    .workgroup_processor_mode: 1
amdhsa.target:   amdgcn-amd-amdhsa--gfx1201
amdhsa.version:
  - 1
  - 2
...

	.end_amdgpu_metadata
